;; amdgpu-corpus repo=ROCm/rocFFT kind=compiled arch=gfx950 opt=O3
	.text
	.amdgcn_target "amdgcn-amd-amdhsa--gfx950"
	.amdhsa_code_object_version 6
	.protected	fft_rtc_back_len180_factors_10_6_3_wgs_240_tpt_60_half_ip_CI_unitstride_sbrr_C2R_dirReg ; -- Begin function fft_rtc_back_len180_factors_10_6_3_wgs_240_tpt_60_half_ip_CI_unitstride_sbrr_C2R_dirReg
	.globl	fft_rtc_back_len180_factors_10_6_3_wgs_240_tpt_60_half_ip_CI_unitstride_sbrr_C2R_dirReg
	.p2align	8
	.type	fft_rtc_back_len180_factors_10_6_3_wgs_240_tpt_60_half_ip_CI_unitstride_sbrr_C2R_dirReg,@function
fft_rtc_back_len180_factors_10_6_3_wgs_240_tpt_60_half_ip_CI_unitstride_sbrr_C2R_dirReg: ; @fft_rtc_back_len180_factors_10_6_3_wgs_240_tpt_60_half_ip_CI_unitstride_sbrr_C2R_dirReg
; %bb.0:
	s_load_dwordx2 s[8:9], s[0:1], 0x50
	s_load_dwordx4 s[4:7], s[0:1], 0x0
	s_load_dwordx2 s[10:11], s[0:1], 0x18
	v_mul_u32_u24_e32 v1, 0x445, v0
	v_lshrrev_b32_e32 v1, 16, v1
	v_lshl_add_u32 v6, s2, 2, v1
	v_mov_b32_e32 v4, 0
	s_waitcnt lgkmcnt(0)
	v_cmp_lt_u64_e64 s[2:3], s[6:7], 2
	v_mov_b32_e32 v7, v4
	s_and_b64 vcc, exec, s[2:3]
	v_mov_b64_e32 v[2:3], 0
	s_cbranch_vccnz .LBB0_8
; %bb.1:
	s_load_dwordx2 s[2:3], s[0:1], 0x10
	s_add_u32 s12, s10, 8
	s_addc_u32 s13, s11, 0
	s_mov_b64 s[14:15], 1
	v_mov_b64_e32 v[2:3], 0
	s_waitcnt lgkmcnt(0)
	s_add_u32 s16, s2, 8
	s_addc_u32 s17, s3, 0
.LBB0_2:                                ; =>This Inner Loop Header: Depth=1
	s_load_dwordx2 s[18:19], s[16:17], 0x0
                                        ; implicit-def: $vgpr8_vgpr9
	s_waitcnt lgkmcnt(0)
	v_or_b32_e32 v5, s19, v7
	v_cmp_ne_u64_e32 vcc, 0, v[4:5]
	s_and_saveexec_b64 s[2:3], vcc
	s_xor_b64 s[20:21], exec, s[2:3]
	s_cbranch_execz .LBB0_4
; %bb.3:                                ;   in Loop: Header=BB0_2 Depth=1
	v_cvt_f32_u32_e32 v5, s18
	v_cvt_f32_u32_e32 v8, s19
	s_sub_u32 s2, 0, s18
	s_subb_u32 s3, 0, s19
	v_fmac_f32_e32 v5, 0x4f800000, v8
	v_rcp_f32_e32 v5, v5
	s_nop 0
	v_mul_f32_e32 v5, 0x5f7ffffc, v5
	v_mul_f32_e32 v8, 0x2f800000, v5
	v_trunc_f32_e32 v8, v8
	v_fmac_f32_e32 v5, 0xcf800000, v8
	v_cvt_u32_f32_e32 v12, v8
	v_cvt_u32_f32_e32 v5, v5
	v_mul_lo_u32 v8, s2, v12
	v_mul_hi_u32 v10, s2, v5
	v_mul_lo_u32 v9, s3, v5
	v_add_u32_e32 v10, v10, v8
	v_mul_lo_u32 v13, s2, v5
	v_add_u32_e32 v14, v10, v9
	v_mul_hi_u32 v8, v5, v13
	v_mul_hi_u32 v11, v5, v14
	v_mul_lo_u32 v10, v5, v14
	v_mov_b32_e32 v9, v4
	v_lshl_add_u64 v[8:9], v[8:9], 0, v[10:11]
	v_mul_hi_u32 v11, v12, v13
	v_mul_lo_u32 v13, v12, v13
	v_add_co_u32_e32 v8, vcc, v8, v13
	v_mul_hi_u32 v10, v12, v14
	s_nop 0
	v_addc_co_u32_e32 v8, vcc, v9, v11, vcc
	v_mov_b32_e32 v9, v4
	s_nop 0
	v_addc_co_u32_e32 v11, vcc, 0, v10, vcc
	v_mul_lo_u32 v10, v12, v14
	v_lshl_add_u64 v[8:9], v[8:9], 0, v[10:11]
	v_add_co_u32_e32 v5, vcc, v5, v8
	v_mul_lo_u32 v10, s2, v5
	s_nop 0
	v_addc_co_u32_e32 v12, vcc, v12, v9, vcc
	v_mul_lo_u32 v8, s2, v12
	v_mul_hi_u32 v9, s2, v5
	v_add_u32_e32 v8, v9, v8
	v_mul_lo_u32 v9, s3, v5
	v_add_u32_e32 v13, v8, v9
	v_mul_hi_u32 v15, v12, v10
	v_mul_lo_u32 v16, v12, v10
	v_mul_hi_u32 v9, v5, v13
	v_mul_lo_u32 v8, v5, v13
	v_mul_hi_u32 v10, v5, v10
	v_mov_b32_e32 v11, v4
	v_lshl_add_u64 v[8:9], v[10:11], 0, v[8:9]
	v_add_co_u32_e32 v8, vcc, v8, v16
	v_mul_hi_u32 v14, v12, v13
	s_nop 0
	v_addc_co_u32_e32 v8, vcc, v9, v15, vcc
	v_mul_lo_u32 v10, v12, v13
	s_nop 0
	v_addc_co_u32_e32 v11, vcc, 0, v14, vcc
	v_mov_b32_e32 v9, v4
	v_lshl_add_u64 v[8:9], v[8:9], 0, v[10:11]
	v_add_co_u32_e32 v5, vcc, v5, v8
	v_mul_hi_u32 v10, v6, v5
	s_nop 0
	v_addc_co_u32_e32 v12, vcc, v12, v9, vcc
	v_mad_u64_u32 v[8:9], s[2:3], v6, v12, 0
	v_mov_b32_e32 v11, v4
	v_lshl_add_u64 v[8:9], v[10:11], 0, v[8:9]
	v_mad_u64_u32 v[10:11], s[2:3], v7, v12, 0
	v_mad_u64_u32 v[12:13], s[2:3], v7, v5, 0
	v_add_co_u32_e32 v5, vcc, v8, v12
	s_nop 1
	v_addc_co_u32_e32 v8, vcc, v9, v13, vcc
	v_mov_b32_e32 v9, v4
	s_nop 0
	v_addc_co_u32_e32 v11, vcc, 0, v11, vcc
	v_lshl_add_u64 v[8:9], v[8:9], 0, v[10:11]
	v_mul_lo_u32 v5, s19, v8
	v_mul_lo_u32 v12, s18, v9
	v_mad_u64_u32 v[10:11], s[2:3], s18, v8, 0
	v_add3_u32 v5, v11, v12, v5
	v_sub_u32_e32 v11, v7, v5
	v_mov_b32_e32 v12, s19
	v_sub_co_u32_e32 v14, vcc, v6, v10
	s_nop 1
	v_subb_co_u32_e64 v10, s[2:3], v11, v12, vcc
	v_subrev_co_u32_e64 v11, s[2:3], s18, v14
	v_subb_co_u32_e32 v5, vcc, v7, v5, vcc
	s_nop 0
	v_subbrev_co_u32_e64 v10, s[2:3], 0, v10, s[2:3]
	v_cmp_le_u32_e64 s[2:3], s19, v10
	v_cmp_le_u32_e32 vcc, s19, v5
	s_nop 0
	v_cndmask_b32_e64 v12, 0, -1, s[2:3]
	v_cmp_le_u32_e64 s[2:3], s18, v11
	s_nop 1
	v_cndmask_b32_e64 v11, 0, -1, s[2:3]
	v_cmp_eq_u32_e64 s[2:3], s19, v10
	s_nop 1
	v_cndmask_b32_e64 v15, v12, v11, s[2:3]
	v_lshl_add_u64 v[10:11], v[8:9], 0, 2
	v_lshl_add_u64 v[12:13], v[8:9], 0, 1
	v_cmp_ne_u32_e64 s[2:3], 0, v15
	s_nop 1
	v_cndmask_b32_e64 v11, v13, v11, s[2:3]
	v_cndmask_b32_e64 v13, 0, -1, vcc
	v_cmp_le_u32_e32 vcc, s18, v14
	s_nop 1
	v_cndmask_b32_e64 v14, 0, -1, vcc
	v_cmp_eq_u32_e32 vcc, s19, v5
	s_nop 1
	v_cndmask_b32_e32 v5, v13, v14, vcc
	v_cmp_ne_u32_e32 vcc, 0, v5
	v_cndmask_b32_e64 v5, v12, v10, s[2:3]
	s_nop 0
	v_cndmask_b32_e32 v9, v9, v11, vcc
	v_cndmask_b32_e32 v8, v8, v5, vcc
.LBB0_4:                                ;   in Loop: Header=BB0_2 Depth=1
	s_andn2_saveexec_b64 s[2:3], s[20:21]
	s_cbranch_execz .LBB0_6
; %bb.5:                                ;   in Loop: Header=BB0_2 Depth=1
	v_cvt_f32_u32_e32 v5, s18
	s_sub_i32 s20, 0, s18
	v_rcp_iflag_f32_e32 v5, v5
	s_nop 0
	v_mul_f32_e32 v5, 0x4f7ffffe, v5
	v_cvt_u32_f32_e32 v5, v5
	v_mul_lo_u32 v8, s20, v5
	v_mul_hi_u32 v8, v5, v8
	v_add_u32_e32 v5, v5, v8
	v_mul_hi_u32 v5, v6, v5
	v_mul_lo_u32 v8, v5, s18
	v_sub_u32_e32 v8, v6, v8
	v_add_u32_e32 v9, 1, v5
	v_subrev_u32_e32 v10, s18, v8
	v_cmp_le_u32_e32 vcc, s18, v8
	s_nop 1
	v_cndmask_b32_e32 v8, v8, v10, vcc
	v_cndmask_b32_e32 v5, v5, v9, vcc
	v_add_u32_e32 v9, 1, v5
	v_cmp_le_u32_e32 vcc, s18, v8
	s_nop 1
	v_cndmask_b32_e32 v8, v5, v9, vcc
	v_mov_b32_e32 v9, v4
.LBB0_6:                                ;   in Loop: Header=BB0_2 Depth=1
	s_or_b64 exec, exec, s[2:3]
	v_mad_u64_u32 v[10:11], s[2:3], v8, s18, 0
	s_load_dwordx2 s[2:3], s[12:13], 0x0
	v_mul_lo_u32 v5, v9, s18
	v_mul_lo_u32 v12, v8, s19
	v_add3_u32 v5, v11, v12, v5
	v_sub_co_u32_e32 v6, vcc, v6, v10
	s_add_u32 s14, s14, 1
	s_nop 0
	v_subb_co_u32_e32 v5, vcc, v7, v5, vcc
	s_addc_u32 s15, s15, 0
	s_waitcnt lgkmcnt(0)
	v_mul_lo_u32 v5, s2, v5
	v_mul_lo_u32 v7, s3, v6
	v_mad_u64_u32 v[2:3], s[2:3], s2, v6, v[2:3]
	s_add_u32 s12, s12, 8
	v_add3_u32 v3, v7, v3, v5
	s_addc_u32 s13, s13, 0
	v_mov_b64_e32 v[6:7], s[6:7]
	s_add_u32 s16, s16, 8
	v_cmp_ge_u64_e32 vcc, s[14:15], v[6:7]
	s_addc_u32 s17, s17, 0
	s_cbranch_vccnz .LBB0_9
; %bb.7:                                ;   in Loop: Header=BB0_2 Depth=1
	v_mov_b64_e32 v[6:7], v[8:9]
	s_branch .LBB0_2
.LBB0_8:
	v_mov_b64_e32 v[8:9], v[6:7]
.LBB0_9:
	s_lshl_b64 s[2:3], s[6:7], 3
	s_add_u32 s2, s10, s2
	s_addc_u32 s3, s11, s3
	s_load_dwordx2 s[6:7], s[2:3], 0x0
	s_load_dwordx2 s[10:11], s[0:1], 0x20
	v_and_b32_e32 v1, 3, v1
	s_waitcnt lgkmcnt(0)
	v_mad_u64_u32 v[6:7], s[0:1], s6, v8, v[2:3]
	v_mul_lo_u32 v4, s6, v9
	v_mul_lo_u32 v5, s7, v8
	s_mov_b32 s0, 0x4444445
	v_add3_u32 v7, v5, v7, v4
	v_mul_u32_u24_e32 v4, 0xb5, v1
	v_mul_hi_u32 v1, v0, s0
	v_mul_u32_u24_e32 v1, 60, v1
	v_cmp_gt_u64_e32 vcc, s[10:11], v[8:9]
	v_sub_u32_e32 v2, v0, v1
	v_lshl_add_u64 v[0:1], v[6:7], 2, s[8:9]
	v_lshlrev_b32_e32 v10, 2, v4
	s_and_saveexec_b64 s[2:3], vcc
	s_cbranch_execz .LBB0_13
; %bb.10:
	v_mov_b32_e32 v3, 0
	v_lshl_add_u64 v[6:7], v[2:3], 2, v[0:1]
	global_load_dword v5, v[6:7], off
	global_load_dword v8, v[6:7], off offset:240
	global_load_dword v9, v[6:7], off offset:480
	v_lshlrev_b32_e32 v3, 2, v2
	v_add3_u32 v3, 0, v10, v3
	v_cmp_eq_u32_e64 s[0:1], 59, v2
	s_waitcnt vmcnt(1)
	ds_write2_b32 v3, v5, v8 offset1:60
	s_waitcnt vmcnt(0)
	ds_write_b32 v3, v9 offset:480
	s_and_saveexec_b64 s[6:7], s[0:1]
	s_cbranch_execz .LBB0_12
; %bb.11:
	global_load_dword v2, v[0:1], off offset:720
	s_waitcnt vmcnt(0)
	ds_write_b32 v3, v2 offset:484
	v_mov_b32_e32 v2, 59
.LBB0_12:
	s_or_b64 exec, exec, s[6:7]
.LBB0_13:
	s_or_b64 exec, exec, s[2:3]
	v_lshl_add_u32 v8, v4, 2, 0
	v_lshlrev_b32_e32 v3, 2, v2
	v_add_u32_e32 v9, v8, v3
	s_waitcnt lgkmcnt(0)
	s_barrier
	v_sub_u32_e32 v5, v8, v3
	ds_read_u16 v3, v9
	ds_read_u16 v6, v5 offset:720
	v_cmp_ne_u32_e64 s[0:1], 0, v2
	s_waitcnt lgkmcnt(0)
	v_add_f16_e32 v7, v6, v3
	v_sub_f16_e32 v6, v3, v6
	s_and_saveexec_b64 s[2:3], s[0:1]
	s_xor_b64 s[0:1], exec, s[2:3]
	s_cbranch_execnz .LBB0_26
; %bb.14:
	s_andn2_saveexec_b64 s[0:1], s[0:1]
	s_cbranch_execnz .LBB0_27
.LBB0_15:
	s_or_b64 exec, exec, s[0:1]
	v_cmp_gt_u32_e64 s[0:1], 30, v2
	s_and_saveexec_b64 s[2:3], s[0:1]
	s_cbranch_execz .LBB0_17
.LBB0_16:
	s_add_u32 s6, s4, 0x2a8
	s_addc_u32 s7, s5, 0
	v_mov_b32_e32 v3, 0
	v_lshl_add_u64 v[6:7], v[2:3], 2, s[6:7]
	global_load_dword v3, v[6:7], off offset:240
	ds_read_b32 v6, v9 offset:240
	ds_read_b32 v7, v5 offset:480
	s_waitcnt lgkmcnt(0)
	v_add_f16_e32 v11, v6, v7
	v_add_f16_sdwa v12, v7, v6 dst_sel:DWORD dst_unused:UNUSED_PAD src0_sel:WORD_1 src1_sel:WORD_1
	v_sub_f16_e32 v13, v6, v7
	v_sub_f16_sdwa v6, v6, v7 dst_sel:DWORD dst_unused:UNUSED_PAD src0_sel:WORD_1 src1_sel:WORD_1
	s_waitcnt vmcnt(0)
	v_lshrrev_b32_e32 v7, 16, v3
	v_fma_f16 v14, v13, v7, v11
	v_fma_f16 v15, v12, v7, v6
	v_fma_f16 v11, -v13, v7, v11
	v_fma_f16 v6, v12, v7, -v6
	v_fma_f16 v7, -v3, v12, v14
	v_fma_f16 v14, v13, v3, v15
	v_fma_f16 v11, v3, v12, v11
	;; [unrolled: 1-line block ×3, first 2 shown]
	v_pack_b32_f16 v6, v7, v14
	v_pack_b32_f16 v3, v11, v3
	ds_write_b32 v9, v6 offset:240
	ds_write_b32 v5, v3 offset:480
.LBB0_17:
	s_or_b64 exec, exec, s[2:3]
	v_lshl_add_u32 v17, v2, 2, 0
	v_lshl_add_u32 v3, v4, 2, v17
	s_waitcnt lgkmcnt(0)
	s_barrier
	s_barrier
	ds_read2_b32 v[6:7], v3 offset0:18 offset1:36
	ds_read2_b32 v[12:13], v3 offset0:54 offset1:72
	;; [unrolled: 1-line block ×3, first 2 shown]
	ds_read_b32 v5, v9
	ds_read2_b32 v[26:27], v3 offset0:126 offset1:144
	ds_read_b32 v11, v3 offset:648
	s_mov_b32 s2, 0xbb9c
	s_waitcnt lgkmcnt(3)
	v_add_f16_e32 v4, v13, v15
	s_waitcnt lgkmcnt(2)
	v_fma_f16 v16, v4, -0.5, v5
	s_waitcnt lgkmcnt(1)
	v_sub_f16_sdwa v20, v7, v27 dst_sel:DWORD dst_unused:UNUSED_PAD src0_sel:WORD_1 src1_sel:WORD_1
	s_movk_i32 s7, 0x3b9c
	v_fma_f16 v4, v20, s2, v16
	v_sub_f16_sdwa v21, v13, v15 dst_sel:DWORD dst_unused:UNUSED_PAD src0_sel:WORD_1 src1_sel:WORD_1
	s_mov_b32 s3, 0xb8b4
	v_sub_f16_e32 v18, v27, v15
	v_sub_f16_e32 v19, v7, v13
	v_fma_f16 v16, v20, s7, v16
	s_movk_i32 s8, 0x38b4
	v_fma_f16 v4, v21, s3, v4
	v_add_f16_e32 v18, v19, v18
	s_movk_i32 s6, 0x34f2
	v_fma_f16 v16, v21, s8, v16
	v_fma_f16 v4, v18, s6, v4
	;; [unrolled: 1-line block ×3, first 2 shown]
	v_add_f16_e32 v16, v7, v27
	v_fma_f16 v16, v16, -0.5, v5
	v_fma_f16 v19, v21, s7, v16
	v_sub_f16_e32 v22, v15, v27
	v_sub_f16_e32 v23, v13, v7
	v_fma_f16 v16, v21, s2, v16
	v_add_f16_e32 v22, v23, v22
	v_fma_f16 v16, v20, s8, v16
	v_fma_f16 v19, v20, s3, v19
	;; [unrolled: 1-line block ×3, first 2 shown]
	v_pk_add_f16 v16, v5, v7
	v_lshrrev_b32_e32 v5, 16, v5
	v_pk_add_f16 v16, v16, v13
	v_sub_f16_e32 v24, v7, v27
	v_pk_add_f16 v16, v16, v15
	v_fma_f16 v19, v22, s6, v19
	v_pk_add_f16 v34, v16, v27
	v_add_f16_sdwa v16, v13, v15 dst_sel:DWORD dst_unused:UNUSED_PAD src0_sel:WORD_1 src1_sel:WORD_1
	v_fma_f16 v16, v16, -0.5, v5
	v_fma_f16 v21, v24, s7, v16
	v_sub_f16_e32 v25, v13, v15
	v_sub_f16_sdwa v22, v7, v13 dst_sel:DWORD dst_unused:UNUSED_PAD src0_sel:WORD_1 src1_sel:WORD_1
	v_sub_f16_sdwa v23, v27, v15 dst_sel:DWORD dst_unused:UNUSED_PAD src0_sel:WORD_1 src1_sel:WORD_1
	v_fma_f16 v16, v24, s2, v16
	v_fma_f16 v21, v25, s8, v21
	v_add_f16_e32 v22, v22, v23
	v_fma_f16 v16, v25, s3, v16
	v_fma_f16 v21, v22, s6, v21
	v_fma_f16 v22, v22, s6, v16
	v_add_f16_sdwa v16, v7, v27 dst_sel:DWORD dst_unused:UNUSED_PAD src0_sel:WORD_1 src1_sel:WORD_1
	v_fma_f16 v5, v16, -0.5, v5
	v_fma_f16 v16, v25, s2, v5
	v_sub_f16_sdwa v7, v13, v7 dst_sel:DWORD dst_unused:UNUSED_PAD src0_sel:WORD_1 src1_sel:WORD_1
	v_sub_f16_sdwa v13, v15, v27 dst_sel:DWORD dst_unused:UNUSED_PAD src0_sel:WORD_1 src1_sel:WORD_1
	v_fma_f16 v5, v25, s7, v5
	v_add_f16_e32 v7, v7, v13
	v_fma_f16 v5, v24, s3, v5
	v_fma_f16 v16, v24, s8, v16
	;; [unrolled: 1-line block ×3, first 2 shown]
	v_add_f16_e32 v5, v14, v26
	v_fma_f16 v23, v7, s6, v16
	v_fma_f16 v5, v5, -0.5, v6
	s_waitcnt lgkmcnt(0)
	v_sub_f16_sdwa v7, v12, v11 dst_sel:DWORD dst_unused:UNUSED_PAD src0_sel:WORD_1 src1_sel:WORD_1
	v_fma_f16 v13, v7, s2, v5
	v_sub_f16_sdwa v15, v14, v26 dst_sel:DWORD dst_unused:UNUSED_PAD src0_sel:WORD_1 src1_sel:WORD_1
	v_sub_f16_e32 v16, v11, v26
	v_sub_f16_e32 v25, v12, v14
	v_fma_f16 v5, v7, s7, v5
	v_fma_f16 v13, v15, s3, v13
	v_add_f16_e32 v16, v25, v16
	v_fma_f16 v5, v15, s8, v5
	v_fma_f16 v13, v16, s6, v13
	;; [unrolled: 1-line block ×3, first 2 shown]
	v_add_f16_e32 v5, v12, v11
	v_fma_f16 v5, v5, -0.5, v6
	v_fma_f16 v25, v15, s7, v5
	v_sub_f16_e32 v27, v26, v11
	v_sub_f16_e32 v28, v14, v12
	v_fma_f16 v5, v15, s2, v5
	v_add_f16_e32 v27, v28, v27
	v_fma_f16 v5, v7, s8, v5
	v_fma_f16 v32, v27, s6, v5
	v_pk_add_f16 v5, v6, v12
	v_lshrrev_b32_e32 v6, 16, v6
	v_pk_add_f16 v5, v5, v14
	v_fma_f16 v25, v7, s3, v25
	v_pk_add_f16 v5, v5, v26
	v_sub_f16_e32 v7, v12, v11
	v_pk_add_f16 v35, v5, v11
	v_add_f16_sdwa v5, v14, v26 dst_sel:DWORD dst_unused:UNUSED_PAD src0_sel:WORD_1 src1_sel:WORD_1
	v_fma_f16 v5, v5, -0.5, v6
	v_fma_f16 v31, v27, s6, v25
	v_fma_f16 v15, v7, s7, v5
	v_sub_f16_e32 v25, v14, v26
	v_sub_f16_sdwa v27, v12, v14 dst_sel:DWORD dst_unused:UNUSED_PAD src0_sel:WORD_1 src1_sel:WORD_1
	v_sub_f16_sdwa v28, v11, v26 dst_sel:DWORD dst_unused:UNUSED_PAD src0_sel:WORD_1 src1_sel:WORD_1
	v_fma_f16 v5, v7, s2, v5
	v_add_f16_e32 v27, v27, v28
	v_fma_f16 v5, v25, s3, v5
	v_fma_f16 v33, v27, s6, v5
	v_add_f16_sdwa v5, v12, v11 dst_sel:DWORD dst_unused:UNUSED_PAD src0_sel:WORD_1 src1_sel:WORD_1
	v_fma_f16 v5, v5, -0.5, v6
	v_fma_f16 v15, v25, s8, v15
	v_fma_f16 v6, v25, s2, v5
	v_sub_f16_sdwa v12, v14, v12 dst_sel:DWORD dst_unused:UNUSED_PAD src0_sel:WORD_1 src1_sel:WORD_1
	v_sub_f16_sdwa v11, v26, v11 dst_sel:DWORD dst_unused:UNUSED_PAD src0_sel:WORD_1 src1_sel:WORD_1
	v_fma_f16 v5, v25, s7, v5
	v_fma_f16 v15, v27, s6, v15
	;; [unrolled: 1-line block ×3, first 2 shown]
	v_add_f16_e32 v11, v12, v11
	v_fma_f16 v5, v7, s3, v5
	v_fma_f16 v14, v11, s6, v6
	;; [unrolled: 1-line block ×3, first 2 shown]
	v_mul_f16_e32 v5, 0xb8b4, v15
	s_movk_i32 s2, 0x3a79
	v_fma_f16 v26, v13, s2, v5
	v_mul_f16_e32 v5, 0xbb9c, v14
	v_mul_f16_e32 v12, 0x38b4, v13
	;; [unrolled: 1-line block ×3, first 2 shown]
	v_fma_f16 v27, v31, s6, v5
	v_mul_f16_e32 v6, 0xbb9c, v36
	s_mov_b32 s3, 0xb4f2
	v_fma_f16 v31, v31, s7, v13
	v_mul_f16_e32 v13, 0xb4f2, v36
	v_fma_f16 v28, v32, s3, v6
	v_mul_f16_e32 v7, 0xb8b4, v33
	s_mov_b32 s3, 0xba79
	v_fma_f16 v32, v32, s7, v13
	v_mul_f16_e32 v13, 0xba79, v33
	v_fma_f16 v29, v16, s3, v7
	v_fma_f16 v30, v15, s2, v12
	v_fma_f16 v33, v16, s8, v13
	v_add_f16_e32 v25, v4, v26
	v_add_f16_e32 v5, v19, v27
	;; [unrolled: 1-line block ×4, first 2 shown]
	v_pk_add_f16 v11, v34, v35
	v_add_f16_e32 v12, v21, v30
	v_add_f16_e32 v15, v23, v31
	v_add_f16_e32 v14, v24, v32
	v_add_f16_e32 v16, v22, v33
	v_pk_add_f16 v13, v34, v35 neg_lo:[0,1] neg_hi:[0,1]
	v_cmp_gt_u32_e64 s[2:3], 18, v2
	s_barrier
	s_and_saveexec_b64 s[6:7], s[2:3]
	s_cbranch_execz .LBB0_19
; %bb.18:
	v_sub_f16_e32 v4, v4, v26
	v_mul_u32_u24_e32 v26, 36, v2
	s_mov_b32 s2, 0x5040100
	v_sub_f16_e32 v23, v23, v31
	v_sub_f16_e32 v21, v21, v30
	;; [unrolled: 1-line block ×3, first 2 shown]
	v_add3_u32 v17, v17, v26, v10
	v_perm_b32 v26, v12, v25, s2
	v_sub_f16_e32 v22, v22, v33
	v_sub_f16_e32 v24, v24, v32
	;; [unrolled: 1-line block ×4, first 2 shown]
	ds_write2_b32 v17, v11, v26 offset1:1
	v_perm_b32 v26, v14, v6, s2
	v_perm_b32 v27, v15, v5, s2
	v_pack_b32_f16 v19, v19, v23
	v_pack_b32_f16 v4, v4, v21
	ds_write2_b32 v17, v27, v26 offset0:2 offset1:3
	v_perm_b32 v26, v16, v7, s2
	ds_write2_b32 v17, v4, v19 offset0:6 offset1:7
	v_pack_b32_f16 v4, v18, v22
	v_pack_b32_f16 v18, v20, v24
	ds_write2_b32 v17, v26, v13 offset0:4 offset1:5
	ds_write2_b32 v17, v18, v4 offset0:8 offset1:9
.LBB0_19:
	s_or_b64 exec, exec, s[6:7]
	s_mov_b32 s6, 0xffff
	v_bfi_b32 v4, s6, v25, v13
	s_waitcnt lgkmcnt(0)
	s_barrier
	s_and_saveexec_b64 s[2:3], s[0:1]
	s_cbranch_execz .LBB0_21
; %bb.20:
	ds_read2_b32 v[4:5], v3 offset0:30 offset1:60
	ds_read2_b32 v[6:7], v3 offset0:90 offset1:120
	ds_read_b32 v11, v9
	ds_read_b32 v13, v3 offset:600
	s_waitcnt lgkmcnt(3)
	v_lshrrev_b32_e32 v12, 16, v4
	v_lshrrev_b32_e32 v15, 16, v5
	s_waitcnt lgkmcnt(2)
	v_lshrrev_b32_e32 v14, 16, v6
	v_lshrrev_b32_e32 v16, 16, v7
	s_waitcnt lgkmcnt(0)
	v_bfi_b32 v4, s6, v4, v13
.LBB0_21:
	s_or_b64 exec, exec, s[2:3]
	s_barrier
	s_and_saveexec_b64 s[2:3], s[0:1]
	s_cbranch_execz .LBB0_23
; %bb.22:
	s_movk_i32 s0, 0xcd
	v_mul_lo_u16_sdwa v17, v2, s0 dst_sel:DWORD dst_unused:UNUSED_PAD src0_sel:BYTE_0 src1_sel:DWORD
	v_lshrrev_b16_e32 v17, 11, v17
	v_mul_lo_u16_e32 v18, 10, v17
	v_sub_u16_e32 v18, v2, v18
	v_and_b32_e32 v22, 0xff, v18
	v_mul_u32_u24_e32 v18, 5, v22
	v_lshlrev_b32_e32 v23, 2, v18
	global_load_dwordx4 v[18:21], v23, s[4:5]
	global_load_dword v24, v23, s[4:5] offset:16
	v_mul_lo_u16_e32 v17, 60, v17
	v_and_b32_e32 v17, 0xfc, v17
	v_lshlrev_b32_e32 v17, 2, v17
	v_lshl_add_u32 v22, v22, 2, 0
	v_lshrrev_b32_e32 v25, 16, v4
	v_add3_u32 v10, v22, v17, v10
	v_lshrrev_b32_e32 v23, 16, v11
	s_mov_b32 s0, 0xbaee
	s_movk_i32 s1, 0x3aee
	s_waitcnt vmcnt(1)
	v_mul_f16_sdwa v17, v5, v19 dst_sel:DWORD dst_unused:UNUSED_PAD src0_sel:DWORD src1_sel:WORD_1
	v_mul_f16_sdwa v31, v6, v20 dst_sel:DWORD dst_unused:UNUSED_PAD src0_sel:DWORD src1_sel:WORD_1
	s_waitcnt vmcnt(0)
	v_mul_f16_sdwa v32, v13, v24 dst_sel:DWORD dst_unused:UNUSED_PAD src0_sel:DWORD src1_sel:WORD_1
	v_mul_f16_sdwa v22, v7, v21 dst_sel:DWORD dst_unused:UNUSED_PAD src0_sel:DWORD src1_sel:WORD_1
	;; [unrolled: 1-line block ×8, first 2 shown]
	v_fma_f16 v15, v15, v19, -v17
	v_fma_f16 v14, v14, v20, -v31
	;; [unrolled: 1-line block ×4, first 2 shown]
	v_fma_f16 v5, v5, v19, v26
	v_fma_f16 v7, v7, v21, v27
	;; [unrolled: 1-line block ×5, first 2 shown]
	v_fma_f16 v12, v12, v18, -v33
	v_add_f16_e32 v22, v14, v17
	v_add_f16_e32 v18, v15, v16
	v_sub_f16_e32 v19, v5, v7
	v_add_f16_e32 v20, v6, v13
	v_sub_f16_e32 v21, v14, v17
	v_sub_f16_e32 v24, v6, v13
	v_add_f16_e32 v25, v23, v15
	v_add_f16_e32 v14, v12, v14
	;; [unrolled: 1-line block ×5, first 2 shown]
	v_fma_f16 v12, v22, -0.5, v12
	v_sub_f16_e32 v15, v15, v16
	v_fma_f16 v18, v18, -0.5, v23
	v_fma_f16 v4, v20, -0.5, v4
	v_add_f16_e32 v16, v25, v16
	v_add_f16_e32 v14, v14, v17
	v_fma_f16 v11, v26, -0.5, v11
	v_add_f16_e32 v5, v5, v7
	v_add_f16_e32 v6, v6, v13
	v_fma_f16 v17, v24, s0, v12
	v_fma_f16 v12, v24, s1, v12
	;; [unrolled: 1-line block ×6, first 2 shown]
	v_sub_f16_e32 v19, v16, v14
	v_fma_f16 v20, v15, s1, v11
	v_fma_f16 v11, v15, s0, v11
	v_sub_f16_e32 v15, v5, v6
	v_add_f16_e32 v14, v16, v14
	v_add_f16_e32 v5, v5, v6
	v_mul_f16_e32 v6, -0.5, v17
	v_mul_f16_e32 v16, 0.5, v12
	v_mul_f16_e32 v12, 0xbaee, v12
	v_mul_f16_e32 v17, 0xbaee, v17
	v_pack_b32_f16 v5, v5, v14
	v_pack_b32_f16 v14, v15, v19
	v_fma_f16 v6, v13, s1, v6
	v_fma_f16 v15, v4, s1, v16
	v_fma_f16 v4, v4, 0.5, v12
	v_fma_f16 v13, v13, -0.5, v17
	v_sub_f16_e32 v12, v7, v6
	v_sub_f16_e32 v19, v11, v4
	v_add_f16_e32 v6, v7, v6
	v_add_f16_e32 v7, v18, v15
	;; [unrolled: 1-line block ×3, first 2 shown]
	v_sub_f16_e32 v16, v18, v15
	v_sub_f16_e32 v17, v20, v13
	v_add_f16_e32 v13, v20, v13
	v_pack_b32_f16 v4, v4, v7
	v_pack_b32_f16 v6, v13, v6
	;; [unrolled: 1-line block ×4, first 2 shown]
	ds_write2_b32 v10, v5, v4 offset1:10
	ds_write2_b32 v10, v6, v14 offset0:20 offset1:30
	ds_write2_b32 v10, v7, v11 offset0:40 offset1:50
.LBB0_23:
	s_or_b64 exec, exec, s[2:3]
	v_lshlrev_b32_e32 v4, 1, v2
	v_mov_b32_e32 v5, 0
	v_lshl_add_u64 v[6:7], v[4:5], 2, s[4:5]
	s_waitcnt lgkmcnt(0)
	s_barrier
	global_load_dwordx2 v[6:7], v[6:7], off offset:200
	ds_read_b32 v4, v9
	ds_read2_b32 v[10:11], v3 offset0:60 offset1:120
	s_mov_b32 s0, 0xbaee
	s_movk_i32 s1, 0x3aee
	s_waitcnt lgkmcnt(0)
	v_lshrrev_b32_e32 v13, 16, v4
	v_lshrrev_b32_e32 v9, 16, v10
	;; [unrolled: 1-line block ×3, first 2 shown]
	s_barrier
	s_waitcnt vmcnt(0)
	v_mul_f16_sdwa v14, v6, v9 dst_sel:DWORD dst_unused:UNUSED_PAD src0_sel:WORD_1 src1_sel:DWORD
	v_mul_f16_sdwa v15, v6, v10 dst_sel:DWORD dst_unused:UNUSED_PAD src0_sel:WORD_1 src1_sel:DWORD
	;; [unrolled: 1-line block ×4, first 2 shown]
	v_fma_f16 v10, v6, v10, v14
	v_fma_f16 v6, v6, v9, -v15
	v_fma_f16 v9, v7, v11, v16
	v_fma_f16 v7, v7, v12, -v17
	v_add_f16_e32 v12, v10, v9
	v_sub_f16_e32 v14, v6, v7
	v_add_f16_e32 v15, v6, v13
	v_add_f16_e32 v6, v6, v7
	;; [unrolled: 1-line block ×3, first 2 shown]
	v_sub_f16_e32 v10, v10, v9
	v_fma_f16 v4, v12, -0.5, v4
	v_fma_f16 v6, v6, -0.5, v13
	v_add_f16_e32 v9, v11, v9
	v_add_f16_e32 v7, v15, v7
	v_fma_f16 v11, v14, s0, v4
	v_fma_f16 v12, v10, s1, v6
	;; [unrolled: 1-line block ×4, first 2 shown]
	v_pack_b32_f16 v7, v9, v7
	v_pack_b32_f16 v9, v11, v12
	;; [unrolled: 1-line block ×3, first 2 shown]
	ds_write2_b32 v3, v7, v9 offset1:60
	ds_write_b32 v3, v4 offset:480
	s_waitcnt lgkmcnt(0)
	s_barrier
	s_and_saveexec_b64 s[0:1], vcc
	s_cbranch_execz .LBB0_25
; %bb.24:
	v_lshl_add_u32 v10, v2, 2, v8
	ds_read2_b32 v[6:7], v10 offset1:60
	v_mov_b32_e32 v3, v5
	v_lshl_add_u64 v[8:9], v[2:3], 2, v[0:1]
	ds_read_b32 v3, v10 offset:480
	v_add_u32_e32 v4, 60, v2
	s_waitcnt lgkmcnt(1)
	global_store_dword v[8:9], v6, off
	v_lshl_add_u64 v[8:9], v[4:5], 2, v[0:1]
	v_add_u32_e32 v4, 0x78, v2
	v_lshl_add_u64 v[0:1], v[4:5], 2, v[0:1]
	global_store_dword v[8:9], v7, off
	s_waitcnt lgkmcnt(0)
	global_store_dword v[0:1], v3, off
.LBB0_25:
	s_endpgm
.LBB0_26:
	v_mov_b32_e32 v3, 0
	v_lshl_add_u64 v[12:13], v[2:3], 2, s[4:5]
	global_load_dword v3, v[12:13], off offset:680
	ds_read_u16 v11, v5 offset:722
	ds_read_u16 v12, v9 offset:2
	s_waitcnt lgkmcnt(0)
	v_add_f16_e32 v13, v11, v12
	v_sub_f16_e32 v11, v12, v11
	s_waitcnt vmcnt(0)
	v_lshrrev_b32_e32 v12, 16, v3
	v_fma_f16 v14, v6, v12, v7
	v_fma_f16 v15, v13, v12, v11
	v_fma_f16 v7, -v6, v12, v7
	v_fma_f16 v11, v13, v12, -v11
	v_fma_f16 v12, -v3, v13, v14
	v_fma_f16 v14, v6, v3, v15
	v_fma_f16 v7, v3, v13, v7
	;; [unrolled: 1-line block ×3, first 2 shown]
	v_pack_b32_f16 v6, v12, v14
	v_pack_b32_f16 v3, v7, v3
	ds_write_b32 v9, v6
	ds_write_b32 v5, v3 offset:720
                                        ; implicit-def: $vgpr7
                                        ; implicit-def: $vgpr6
	s_andn2_saveexec_b64 s[0:1], s[0:1]
	s_cbranch_execz .LBB0_15
.LBB0_27:
	v_pack_b32_f16 v3, v7, v6
	ds_write_b32 v9, v3
	ds_read_b32 v3, v8 offset:360
	s_mov_b32 s2, 0xc0004000
	s_waitcnt lgkmcnt(0)
	v_pk_mul_f16 v3, v3, s2
	ds_write_b32 v8, v3 offset:360
	s_or_b64 exec, exec, s[0:1]
	v_cmp_gt_u32_e64 s[0:1], 30, v2
	s_and_saveexec_b64 s[2:3], s[0:1]
	s_cbranch_execnz .LBB0_16
	s_branch .LBB0_17
	.section	.rodata,"a",@progbits
	.p2align	6, 0x0
	.amdhsa_kernel fft_rtc_back_len180_factors_10_6_3_wgs_240_tpt_60_half_ip_CI_unitstride_sbrr_C2R_dirReg
		.amdhsa_group_segment_fixed_size 0
		.amdhsa_private_segment_fixed_size 0
		.amdhsa_kernarg_size 88
		.amdhsa_user_sgpr_count 2
		.amdhsa_user_sgpr_dispatch_ptr 0
		.amdhsa_user_sgpr_queue_ptr 0
		.amdhsa_user_sgpr_kernarg_segment_ptr 1
		.amdhsa_user_sgpr_dispatch_id 0
		.amdhsa_user_sgpr_kernarg_preload_length 0
		.amdhsa_user_sgpr_kernarg_preload_offset 0
		.amdhsa_user_sgpr_private_segment_size 0
		.amdhsa_uses_dynamic_stack 0
		.amdhsa_enable_private_segment 0
		.amdhsa_system_sgpr_workgroup_id_x 1
		.amdhsa_system_sgpr_workgroup_id_y 0
		.amdhsa_system_sgpr_workgroup_id_z 0
		.amdhsa_system_sgpr_workgroup_info 0
		.amdhsa_system_vgpr_workitem_id 0
		.amdhsa_next_free_vgpr 37
		.amdhsa_next_free_sgpr 22
		.amdhsa_accum_offset 40
		.amdhsa_reserve_vcc 1
		.amdhsa_float_round_mode_32 0
		.amdhsa_float_round_mode_16_64 0
		.amdhsa_float_denorm_mode_32 3
		.amdhsa_float_denorm_mode_16_64 3
		.amdhsa_dx10_clamp 1
		.amdhsa_ieee_mode 1
		.amdhsa_fp16_overflow 0
		.amdhsa_tg_split 0
		.amdhsa_exception_fp_ieee_invalid_op 0
		.amdhsa_exception_fp_denorm_src 0
		.amdhsa_exception_fp_ieee_div_zero 0
		.amdhsa_exception_fp_ieee_overflow 0
		.amdhsa_exception_fp_ieee_underflow 0
		.amdhsa_exception_fp_ieee_inexact 0
		.amdhsa_exception_int_div_zero 0
	.end_amdhsa_kernel
	.text
.Lfunc_end0:
	.size	fft_rtc_back_len180_factors_10_6_3_wgs_240_tpt_60_half_ip_CI_unitstride_sbrr_C2R_dirReg, .Lfunc_end0-fft_rtc_back_len180_factors_10_6_3_wgs_240_tpt_60_half_ip_CI_unitstride_sbrr_C2R_dirReg
                                        ; -- End function
	.section	.AMDGPU.csdata,"",@progbits
; Kernel info:
; codeLenInByte = 4216
; NumSgprs: 28
; NumVgprs: 37
; NumAgprs: 0
; TotalNumVgprs: 37
; ScratchSize: 0
; MemoryBound: 0
; FloatMode: 240
; IeeeMode: 1
; LDSByteSize: 0 bytes/workgroup (compile time only)
; SGPRBlocks: 3
; VGPRBlocks: 4
; NumSGPRsForWavesPerEU: 28
; NumVGPRsForWavesPerEU: 37
; AccumOffset: 40
; Occupancy: 8
; WaveLimiterHint : 1
; COMPUTE_PGM_RSRC2:SCRATCH_EN: 0
; COMPUTE_PGM_RSRC2:USER_SGPR: 2
; COMPUTE_PGM_RSRC2:TRAP_HANDLER: 0
; COMPUTE_PGM_RSRC2:TGID_X_EN: 1
; COMPUTE_PGM_RSRC2:TGID_Y_EN: 0
; COMPUTE_PGM_RSRC2:TGID_Z_EN: 0
; COMPUTE_PGM_RSRC2:TIDIG_COMP_CNT: 0
; COMPUTE_PGM_RSRC3_GFX90A:ACCUM_OFFSET: 9
; COMPUTE_PGM_RSRC3_GFX90A:TG_SPLIT: 0
	.text
	.p2alignl 6, 3212836864
	.fill 256, 4, 3212836864
	.type	__hip_cuid_562ad89677d35b80,@object ; @__hip_cuid_562ad89677d35b80
	.section	.bss,"aw",@nobits
	.globl	__hip_cuid_562ad89677d35b80
__hip_cuid_562ad89677d35b80:
	.byte	0                               ; 0x0
	.size	__hip_cuid_562ad89677d35b80, 1

	.ident	"AMD clang version 19.0.0git (https://github.com/RadeonOpenCompute/llvm-project roc-6.4.0 25133 c7fe45cf4b819c5991fe208aaa96edf142730f1d)"
	.section	".note.GNU-stack","",@progbits
	.addrsig
	.addrsig_sym __hip_cuid_562ad89677d35b80
	.amdgpu_metadata
---
amdhsa.kernels:
  - .agpr_count:     0
    .args:
      - .actual_access:  read_only
        .address_space:  global
        .offset:         0
        .size:           8
        .value_kind:     global_buffer
      - .offset:         8
        .size:           8
        .value_kind:     by_value
      - .actual_access:  read_only
        .address_space:  global
        .offset:         16
        .size:           8
        .value_kind:     global_buffer
      - .actual_access:  read_only
        .address_space:  global
        .offset:         24
        .size:           8
        .value_kind:     global_buffer
      - .offset:         32
        .size:           8
        .value_kind:     by_value
      - .actual_access:  read_only
        .address_space:  global
        .offset:         40
        .size:           8
        .value_kind:     global_buffer
      - .actual_access:  read_only
        .address_space:  global
        .offset:         48
        .size:           8
        .value_kind:     global_buffer
      - .offset:         56
        .size:           4
        .value_kind:     by_value
      - .actual_access:  read_only
        .address_space:  global
        .offset:         64
        .size:           8
        .value_kind:     global_buffer
      - .actual_access:  read_only
        .address_space:  global
        .offset:         72
        .size:           8
        .value_kind:     global_buffer
      - .address_space:  global
        .offset:         80
        .size:           8
        .value_kind:     global_buffer
    .group_segment_fixed_size: 0
    .kernarg_segment_align: 8
    .kernarg_segment_size: 88
    .language:       OpenCL C
    .language_version:
      - 2
      - 0
    .max_flat_workgroup_size: 240
    .name:           fft_rtc_back_len180_factors_10_6_3_wgs_240_tpt_60_half_ip_CI_unitstride_sbrr_C2R_dirReg
    .private_segment_fixed_size: 0
    .sgpr_count:     28
    .sgpr_spill_count: 0
    .symbol:         fft_rtc_back_len180_factors_10_6_3_wgs_240_tpt_60_half_ip_CI_unitstride_sbrr_C2R_dirReg.kd
    .uniform_work_group_size: 1
    .uses_dynamic_stack: false
    .vgpr_count:     37
    .vgpr_spill_count: 0
    .wavefront_size: 64
amdhsa.target:   amdgcn-amd-amdhsa--gfx950
amdhsa.version:
  - 1
  - 2
...

	.end_amdgpu_metadata
